;; amdgpu-corpus repo=ROCm/rocFFT kind=compiled arch=gfx1201 opt=O3
	.text
	.amdgcn_target "amdgcn-amd-amdhsa--gfx1201"
	.amdhsa_code_object_version 6
	.protected	bluestein_single_fwd_len1250_dim1_sp_op_CI_CI ; -- Begin function bluestein_single_fwd_len1250_dim1_sp_op_CI_CI
	.globl	bluestein_single_fwd_len1250_dim1_sp_op_CI_CI
	.p2align	8
	.type	bluestein_single_fwd_len1250_dim1_sp_op_CI_CI,@function
bluestein_single_fwd_len1250_dim1_sp_op_CI_CI: ; @bluestein_single_fwd_len1250_dim1_sp_op_CI_CI
; %bb.0:
	s_load_b128 s[12:15], s[0:1], 0x28
	v_mul_u32_u24_e32 v1, 0x107, v0
	s_mov_b32 s2, exec_lo
	v_mov_b32_e32 v53, 0
	s_delay_alu instid0(VALU_DEP_2) | instskip(NEXT) | instid1(VALU_DEP_1)
	v_lshrrev_b32_e32 v1, 16, v1
	v_add_nc_u32_e32 v52, ttmp9, v1
	s_wait_kmcnt 0x0
	s_delay_alu instid0(VALU_DEP_1)
	v_cmpx_gt_u64_e64 s[12:13], v[52:53]
	s_cbranch_execz .LBB0_10
; %bb.1:
	s_clause 0x1
	s_load_b128 s[4:7], s[0:1], 0x18
	s_load_b128 s[8:11], s[0:1], 0x0
	v_mul_lo_u16 v1, 0xfa, v1
	s_load_b64 s[0:1], s[0:1], 0x38
                                        ; implicit-def: $vgpr32
	s_delay_alu instid0(VALU_DEP_1) | instskip(NEXT) | instid1(VALU_DEP_1)
	v_sub_nc_u16 v14, v0, v1
	v_and_b32_e32 v65, 0xffff, v14
	s_delay_alu instid0(VALU_DEP_1)
	v_lshlrev_b32_e32 v66, 3, v65
	s_wait_kmcnt 0x0
	s_load_b128 s[16:19], s[4:5], 0x0
	s_clause 0x2
	global_load_b64 v[55:56], v66, s[8:9]
	global_load_b64 v[57:58], v66, s[8:9] offset:2000
	global_load_b64 v[53:54], v66, s[8:9] offset:4000
	s_wait_kmcnt 0x0
	v_mad_co_u64_u32 v[0:1], null, s18, v52, 0
	v_mad_co_u64_u32 v[2:3], null, s16, v65, 0
	s_mul_u64 s[2:3], s[16:17], 0x7d0
	s_delay_alu instid0(VALU_DEP_1) | instskip(NEXT) | instid1(VALU_DEP_1)
	v_mad_co_u64_u32 v[4:5], null, s19, v52, v[1:2]
	v_mad_co_u64_u32 v[5:6], null, s17, v65, v[3:4]
	v_mov_b32_e32 v1, v4
	s_delay_alu instid0(VALU_DEP_1) | instskip(NEXT) | instid1(VALU_DEP_3)
	v_lshlrev_b64_e32 v[0:1], 3, v[0:1]
	v_mov_b32_e32 v3, v5
	s_delay_alu instid0(VALU_DEP_2) | instskip(NEXT) | instid1(VALU_DEP_2)
	v_add_co_u32 v0, vcc_lo, s14, v0
	v_lshlrev_b64_e32 v[2:3], 3, v[2:3]
	s_delay_alu instid0(VALU_DEP_4) | instskip(NEXT) | instid1(VALU_DEP_2)
	v_add_co_ci_u32_e32 v1, vcc_lo, s15, v1, vcc_lo
	v_add_co_u32 v0, vcc_lo, v0, v2
	s_wait_alu 0xfffd
	s_delay_alu instid0(VALU_DEP_2) | instskip(NEXT) | instid1(VALU_DEP_2)
	v_add_co_ci_u32_e32 v1, vcc_lo, v1, v3, vcc_lo
	v_add_co_u32 v2, vcc_lo, v0, s2
	s_wait_alu 0xfffd
	s_delay_alu instid0(VALU_DEP_2) | instskip(NEXT) | instid1(VALU_DEP_2)
	v_add_co_ci_u32_e32 v3, vcc_lo, s3, v1, vcc_lo
	v_add_co_u32 v4, vcc_lo, v2, s2
	s_wait_alu 0xfffd
	s_delay_alu instid0(VALU_DEP_2)
	v_add_co_ci_u32_e32 v5, vcc_lo, s3, v3, vcc_lo
	s_clause 0x1
	global_load_b64 v[0:1], v[0:1], off
	global_load_b64 v[2:3], v[2:3], off
	v_add_co_u32 v6, vcc_lo, v4, s2
	s_wait_alu 0xfffd
	v_add_co_ci_u32_e32 v7, vcc_lo, s3, v5, vcc_lo
	global_load_b64 v[4:5], v[4:5], off
	v_add_co_u32 v8, vcc_lo, v6, s2
	s_wait_alu 0xfffd
	v_add_co_ci_u32_e32 v9, vcc_lo, s3, v7, vcc_lo
	global_load_b64 v[59:60], v66, s[8:9] offset:6000
	global_load_b64 v[6:7], v[6:7], off
	global_load_b64 v[61:62], v66, s[8:9] offset:8000
	global_load_b64 v[8:9], v[8:9], off
	s_load_b128 s[4:7], s[6:7], 0x0
	v_cmp_gt_u16_e32 vcc_lo, 0x7d, v14
	v_add_co_u32 v44, s2, s8, v66
	s_wait_alu 0xf1ff
	v_add_co_ci_u32_e64 v45, null, s9, 0, s2
	s_wait_loadcnt 0x6
	v_mul_f32_e32 v10, v1, v56
	s_wait_loadcnt 0x5
	v_dual_mul_f32 v11, v0, v56 :: v_dual_mul_f32 v12, v3, v58
	s_delay_alu instid0(VALU_DEP_2)
	v_dual_fmac_f32 v10, v0, v55 :: v_dual_add_nc_u32 v15, 0xf80, v66
	s_wait_loadcnt 0x4
	v_mul_f32_e32 v0, v5, v54
	v_mul_f32_e32 v13, v2, v58
	v_fma_f32 v11, v1, v55, -v11
	v_dual_fmac_f32 v12, v2, v57 :: v_dual_mul_f32 v1, v4, v54
	s_wait_loadcnt 0x2
	v_mul_f32_e32 v2, v7, v60
	v_fmac_f32_e32 v0, v4, v53
	v_fma_f32 v13, v3, v57, -v13
	s_wait_loadcnt 0x0
	v_dual_mul_f32 v3, v6, v60 :: v_dual_mul_f32 v4, v9, v62
	v_mul_f32_e32 v16, v8, v62
	v_fma_f32 v1, v5, v53, -v1
	v_fmac_f32_e32 v2, v6, v59
	s_delay_alu instid0(VALU_DEP_4)
	v_fma_f32 v3, v7, v59, -v3
	v_fmac_f32_e32 v4, v8, v61
	v_fma_f32 v5, v9, v61, -v16
	ds_store_2addr_b64 v66, v[10:11], v[12:13] offset1:250
	ds_store_2addr_b64 v15, v[0:1], v[2:3] offset0:4 offset1:254
	ds_store_b64 v66, v[4:5] offset:8000
	global_wb scope:SCOPE_SE
	s_wait_dscnt 0x0
	s_wait_kmcnt 0x0
	s_barrier_signal -1
	s_barrier_wait -1
	global_inv scope:SCOPE_SE
	ds_load_2addr_b64 v[0:3], v66 offset1:250
	ds_load_2addr_b64 v[4:7], v15 offset0:4 offset1:254
	ds_load_b64 v[8:9], v66 offset:8000
	v_mul_lo_u16 v10, v14, 5
	global_wb scope:SCOPE_SE
	s_wait_dscnt 0x0
	s_barrier_signal -1
	s_barrier_wait -1
	global_inv scope:SCOPE_SE
	v_dual_add_f32 v19, v1, v3 :: v_dual_and_b32 v10, 0xffff, v10
	s_delay_alu instid0(VALU_DEP_1)
	v_dual_add_f32 v21, v5, v7 :: v_dual_lshlrev_b32 v68, 3, v10
	v_dual_add_f32 v25, v3, v9 :: v_dual_add_f32 v10, v0, v2
	v_dual_add_f32 v11, v4, v6 :: v_dual_sub_f32 v12, v3, v9
	v_dual_sub_f32 v15, v8, v6 :: v_dual_add_f32 v16, v2, v8
	v_sub_f32_e32 v23, v3, v5
	v_sub_f32_e32 v3, v5, v3
	v_fma_f32 v21, -0.5, v21, v1
	v_sub_f32_e32 v28, v7, v9
	v_sub_f32_e32 v24, v9, v7
	v_dual_sub_f32 v13, v5, v7 :: v_dual_sub_f32 v14, v2, v4
	v_sub_f32_e32 v17, v4, v2
	v_fma_f32 v20, -0.5, v11, v0
	v_add_f32_e32 v5, v19, v5
	v_fma_f32 v26, -0.5, v16, v0
	v_fma_f32 v27, -0.5, v25, v1
	v_dual_add_f32 v1, v3, v28 :: v_dual_sub_f32 v22, v4, v6
	v_add_f32_e32 v11, v23, v24
	v_sub_f32_e32 v2, v2, v8
	v_fmamk_f32 v24, v13, 0xbf737871, v26
	s_delay_alu instid0(VALU_DEP_4) | instskip(SKIP_1) | instid1(VALU_DEP_4)
	v_dual_fmac_f32 v26, 0x3f737871, v13 :: v_dual_fmamk_f32 v25, v22, 0x3f737871, v27
	v_dual_fmac_f32 v27, 0xbf737871, v22 :: v_dual_add_f32 v4, v10, v4
	v_fmamk_f32 v19, v2, 0xbf737871, v21
	v_dual_fmac_f32 v21, 0x3f737871, v2 :: v_dual_sub_f32 v18, v6, v8
	s_delay_alu instid0(VALU_DEP_3) | instskip(NEXT) | instid1(VALU_DEP_3)
	v_dual_fmac_f32 v24, 0x3f167918, v12 :: v_dual_add_f32 v3, v4, v6
	v_dual_add_f32 v4, v5, v7 :: v_dual_fmac_f32 v19, 0xbf167918, v22
	s_delay_alu instid0(VALU_DEP_3) | instskip(SKIP_2) | instid1(VALU_DEP_4)
	v_add_f32_e32 v0, v17, v18
	v_fmamk_f32 v18, v12, 0x3f737871, v20
	v_fmac_f32_e32 v20, 0xbf737871, v12
	v_dual_add_f32 v10, v14, v15 :: v_dual_add_f32 v17, v4, v9
	v_dual_add_f32 v16, v3, v8 :: v_dual_fmac_f32 v21, 0x3f167918, v22
	s_delay_alu instid0(VALU_DEP_4) | instskip(NEXT) | instid1(VALU_DEP_4)
	v_dual_fmac_f32 v18, 0x3f167918, v13 :: v_dual_fmac_f32 v27, 0x3f167918, v2
	v_dual_fmac_f32 v20, 0xbf167918, v13 :: v_dual_fmac_f32 v25, 0xbf167918, v2
	v_fmac_f32_e32 v26, 0xbf167918, v12
	s_delay_alu instid0(VALU_DEP_3) | instskip(NEXT) | instid1(VALU_DEP_3)
	v_dual_fmac_f32 v18, 0x3e9e377a, v10 :: v_dual_fmac_f32 v19, 0x3e9e377a, v11
	v_dual_fmac_f32 v20, 0x3e9e377a, v10 :: v_dual_fmac_f32 v27, 0x3e9e377a, v1
	;; [unrolled: 1-line block ×3, first 2 shown]
	s_delay_alu instid0(VALU_DEP_4)
	v_dual_fmac_f32 v26, 0x3e9e377a, v0 :: v_dual_fmac_f32 v25, 0x3e9e377a, v1
	ds_store_2addr_b64 v68, v[16:17], v[18:19] offset1:1
	ds_store_2addr_b64 v68, v[24:25], v[26:27] offset0:2 offset1:3
	ds_store_b64 v68, v[20:21] offset:32
	global_wb scope:SCOPE_SE
	s_wait_dscnt 0x0
	s_barrier_signal -1
	s_barrier_wait -1
	global_inv scope:SCOPE_SE
                                        ; implicit-def: $vgpr28
	s_and_saveexec_b32 s2, vcc_lo
	s_cbranch_execz .LBB0_3
; %bb.2:
	v_add_nc_u32_e32 v0, 0x400, v66
	v_add_nc_u32_e32 v1, 0xc00, v66
	;; [unrolled: 1-line block ×4, first 2 shown]
	ds_load_2addr_b64 v[16:19], v66 offset1:125
	ds_load_2addr_b64 v[24:27], v0 offset0:122 offset1:247
	ds_load_2addr_b64 v[20:23], v1 offset0:116 offset1:241
	;; [unrolled: 1-line block ×4, first 2 shown]
.LBB0_3:
	s_wait_alu 0xfffe
	s_or_b32 exec_lo, exec_lo, s2
	v_and_b32_e32 v46, 0xff, v65
	s_delay_alu instid0(VALU_DEP_1) | instskip(NEXT) | instid1(VALU_DEP_1)
	v_mul_lo_u16 v0, 0xcd, v46
	v_lshrrev_b16 v49, 10, v0
	s_delay_alu instid0(VALU_DEP_1) | instskip(NEXT) | instid1(VALU_DEP_1)
	v_mul_lo_u16 v0, v49, 5
	v_sub_nc_u16 v0, v65, v0
	s_delay_alu instid0(VALU_DEP_1) | instskip(NEXT) | instid1(VALU_DEP_1)
	v_and_b32_e32 v67, 0xff, v0
	v_mad_co_u64_u32 v[36:37], null, 0x48, v67, s[10:11]
	s_clause 0x4
	global_load_b128 v[4:7], v[36:37], off
	global_load_b128 v[0:3], v[36:37], off offset:16
	global_load_b128 v[12:15], v[36:37], off offset:32
	;; [unrolled: 1-line block ×3, first 2 shown]
	global_load_b64 v[63:64], v[36:37], off offset:64
	global_wb scope:SCOPE_SE
	s_wait_loadcnt_dscnt 0x0
	s_barrier_signal -1
	s_barrier_wait -1
	global_inv scope:SCOPE_SE
	v_mul_f32_e32 v36, v19, v5
	v_dual_mul_f32 v37, v18, v5 :: v_dual_mul_f32 v38, v25, v7
	v_dual_mul_f32 v39, v24, v7 :: v_dual_mul_f32 v40, v27, v1
	v_mul_f32_e32 v43, v20, v3
	v_dual_mul_f32 v41, v26, v1 :: v_dual_mul_f32 v42, v21, v3
	v_dual_mul_f32 v47, v23, v13 :: v_dual_mul_f32 v50, v29, v15
	;; [unrolled: 1-line block ×5, first 2 shown]
	v_dual_mul_f32 v74, v34, v64 :: v_dual_fmac_f32 v39, v25, v6
	v_fma_f32 v36, v18, v4, -v36
	v_fma_f32 v18, v24, v6, -v38
	v_dual_mul_f32 v73, v35, v64 :: v_dual_fmac_f32 v72, v33, v10
	v_fma_f32 v20, v20, v2, -v42
	v_dual_fmac_f32 v43, v21, v2 :: v_dual_fmac_f32 v48, v23, v12
	v_fma_f32 v21, v22, v12, -v47
	v_fma_f32 v22, v28, v14, -v50
	v_dual_fmac_f32 v51, v29, v14 :: v_dual_fmac_f32 v70, v31, v8
	v_fma_f32 v25, v32, v10, -v71
	v_fmac_f32_e32 v37, v19, v4
	v_fma_f32 v19, v26, v0, -v40
	v_fmac_f32_e32 v41, v27, v0
	v_dual_fmac_f32 v74, v35, v63 :: v_dual_add_f32 v23, v16, v18
	v_fma_f32 v24, v30, v8, -v69
	v_fma_f32 v26, v34, v63, -v73
	v_dual_add_f32 v27, v20, v22 :: v_dual_sub_f32 v28, v39, v72
	v_dual_sub_f32 v29, v43, v51 :: v_dual_sub_f32 v30, v18, v20
	v_dual_sub_f32 v31, v25, v22 :: v_dual_add_f32 v38, v43, v51
	v_dual_add_f32 v32, v18, v25 :: v_dual_sub_f32 v33, v20, v18
	v_sub_f32_e32 v40, v18, v25
	v_dual_sub_f32 v34, v22, v25 :: v_dual_add_f32 v35, v17, v39
	v_dual_sub_f32 v42, v20, v22 :: v_dual_sub_f32 v47, v39, v43
	v_sub_f32_e32 v76, v41, v74
	v_dual_sub_f32 v50, v72, v51 :: v_dual_add_f32 v69, v39, v72
	v_dual_sub_f32 v39, v43, v39 :: v_dual_sub_f32 v82, v24, v26
	v_dual_sub_f32 v71, v51, v72 :: v_dual_add_f32 v84, v48, v70
	v_dual_add_f32 v73, v36, v19 :: v_dual_sub_f32 v78, v19, v21
	v_dual_add_f32 v83, v37, v41 :: v_dual_sub_f32 v90, v70, v74
	v_dual_add_f32 v89, v41, v74 :: v_dual_add_f32 v20, v23, v20
	v_dual_add_f32 v75, v21, v24 :: v_dual_add_f32 v80, v19, v26
	v_dual_sub_f32 v77, v48, v70 :: v_dual_sub_f32 v86, v21, v24
	v_sub_f32_e32 v79, v26, v24
	v_dual_sub_f32 v81, v21, v19 :: v_dual_sub_f32 v88, v74, v70
	v_dual_sub_f32 v85, v19, v26 :: v_dual_add_f32 v30, v30, v31
	v_fma_f32 v18, -0.5, v27, v16
	v_dual_fmac_f32 v16, -0.5, v32 :: v_dual_add_f32 v31, v33, v34
	v_add_f32_e32 v23, v35, v43
	v_fma_f32 v19, -0.5, v38, v17
	v_dual_add_f32 v32, v47, v50 :: v_dual_sub_f32 v87, v41, v48
	v_dual_add_f32 v34, v78, v79 :: v_dual_sub_f32 v41, v48, v41
	v_add_f32_e32 v33, v39, v71
	v_add_f32_e32 v39, v83, v48
	v_fma_f32 v43, -0.5, v84, v37
	v_add_f32_e32 v48, v20, v22
	v_dual_fmamk_f32 v22, v40, 0xbf737871, v19 :: v_dual_add_f32 v27, v73, v21
	v_dual_add_f32 v50, v23, v51 :: v_dual_fmac_f32 v17, -0.5, v69
	v_dual_fmamk_f32 v20, v29, 0xbf737871, v16 :: v_dual_add_f32 v39, v39, v70
	s_delay_alu instid0(VALU_DEP_3) | instskip(SKIP_3) | instid1(VALU_DEP_4)
	v_dual_add_f32 v27, v27, v24 :: v_dual_fmamk_f32 v70, v85, 0xbf737871, v43
	v_fmamk_f32 v21, v28, 0x3f737871, v18
	v_fmac_f32_e32 v18, 0xbf737871, v28
	v_fma_f32 v38, -0.5, v75, v36
	v_add_f32_e32 v26, v27, v26
	v_dual_fmac_f32 v36, -0.5, v80 :: v_dual_fmac_f32 v37, -0.5, v89
	v_dual_fmac_f32 v21, 0x3f167918, v29 :: v_dual_fmac_f32 v20, 0x3f167918, v28
	v_dual_fmac_f32 v18, 0xbf167918, v29 :: v_dual_add_f32 v47, v87, v88
	v_dual_add_f32 v35, v81, v82 :: v_dual_fmac_f32 v16, 0x3f737871, v29
	s_delay_alu instid0(VALU_DEP_3)
	v_dual_fmac_f32 v21, 0x3e9e377a, v30 :: v_dual_fmac_f32 v20, 0x3e9e377a, v31
	v_fmamk_f32 v69, v77, 0xbf737871, v36
	v_fmac_f32_e32 v36, 0x3f737871, v77
	v_fmac_f32_e32 v18, 0x3e9e377a, v30
	v_fmamk_f32 v51, v76, 0x3f737871, v38
	v_fmac_f32_e32 v38, 0xbf737871, v76
	v_fmamk_f32 v71, v86, 0x3f737871, v37
	v_dual_add_f32 v41, v41, v90 :: v_dual_add_f32 v24, v48, v25
	v_fmac_f32_e32 v37, 0xbf737871, v86
	s_delay_alu instid0(VALU_DEP_3) | instskip(SKIP_1) | instid1(VALU_DEP_3)
	v_dual_fmac_f32 v36, 0xbf167918, v76 :: v_dual_fmac_f32 v71, 0xbf167918, v85
	v_dual_fmac_f32 v16, 0xbf167918, v28 :: v_dual_add_f32 v27, v39, v74
	v_fmac_f32_e32 v37, 0x3f167918, v85
	s_delay_alu instid0(VALU_DEP_3) | instskip(SKIP_2) | instid1(VALU_DEP_3)
	v_dual_fmac_f32 v36, 0x3e9e377a, v35 :: v_dual_fmac_f32 v71, 0x3e9e377a, v41
	v_fmamk_f32 v23, v42, 0x3f737871, v17
	v_fmac_f32_e32 v38, 0xbf167918, v77
	v_dual_fmac_f32 v37, 0x3e9e377a, v41 :: v_dual_mul_f32 v30, 0x3e9e377a, v36
	s_delay_alu instid0(VALU_DEP_4) | instskip(NEXT) | instid1(VALU_DEP_4)
	v_mul_f32_e32 v28, 0x3f737871, v71
	v_fmac_f32_e32 v23, 0xbf167918, v40
	v_fmac_f32_e32 v16, 0x3e9e377a, v31
	;; [unrolled: 1-line block ×3, first 2 shown]
	v_fma_f32 v31, 0x3f737871, v37, -v30
	s_delay_alu instid0(VALU_DEP_4) | instskip(SKIP_1) | instid1(VALU_DEP_4)
	v_dual_fmac_f32 v38, 0x3e9e377a, v34 :: v_dual_fmac_f32 v23, 0x3e9e377a, v33
	v_fmac_f32_e32 v43, 0x3f737871, v85
	v_fmac_f32_e32 v69, 0x3e9e377a, v35
	v_dual_add_f32 v25, v50, v72 :: v_dual_fmac_f32 v22, 0xbf167918, v42
	s_delay_alu instid0(VALU_DEP_4) | instskip(NEXT) | instid1(VALU_DEP_4)
	v_mul_f32_e32 v39, 0x3f4f1bbd, v38
	v_fmac_f32_e32 v43, 0x3f167918, v86
	s_delay_alu instid0(VALU_DEP_3) | instskip(SKIP_1) | instid1(VALU_DEP_3)
	v_dual_fmac_f32 v70, 0xbf167918, v86 :: v_dual_sub_f32 v35, v25, v27
	v_fmac_f32_e32 v19, 0x3f737871, v40
	v_fmac_f32_e32 v43, 0x3e9e377a, v47
	s_delay_alu instid0(VALU_DEP_3) | instskip(NEXT) | instid1(VALU_DEP_2)
	v_fmac_f32_e32 v70, 0x3e9e377a, v47
	v_mul_f32_e32 v41, 0x3f4f1bbd, v43
	v_fma_f32 v30, 0x3f167918, v43, -v39
	s_delay_alu instid0(VALU_DEP_3) | instskip(NEXT) | instid1(VALU_DEP_3)
	v_mul_f32_e32 v29, 0x3f167918, v70
	v_fma_f32 v48, 0xbf167918, v38, -v41
	s_delay_alu instid0(VALU_DEP_3) | instskip(NEXT) | instid1(VALU_DEP_1)
	v_dual_sub_f32 v38, v18, v30 :: v_dual_fmac_f32 v51, 0x3f167918, v77
	v_fmac_f32_e32 v51, 0x3e9e377a, v34
	v_sub_f32_e32 v34, v24, v26
	v_fmac_f32_e32 v19, 0x3f167918, v42
	s_delay_alu instid0(VALU_DEP_3) | instskip(SKIP_1) | instid1(VALU_DEP_3)
	v_fmac_f32_e32 v29, 0x3f4f1bbd, v51
	v_fmac_f32_e32 v17, 0xbf737871, v42
	;; [unrolled: 1-line block ×3, first 2 shown]
	s_delay_alu instid0(VALU_DEP_2) | instskip(SKIP_1) | instid1(VALU_DEP_3)
	v_fmac_f32_e32 v17, 0x3f167918, v40
	v_fmac_f32_e32 v22, 0x3e9e377a, v32
	v_dual_mul_f32 v40, 0x3e9e377a, v37 :: v_dual_sub_f32 v39, v19, v48
	s_delay_alu instid0(VALU_DEP_3) | instskip(SKIP_2) | instid1(VALU_DEP_4)
	v_fmac_f32_e32 v17, 0x3e9e377a, v33
	v_mul_f32_e32 v33, 0xbf737871, v69
	v_fmac_f32_e32 v28, 0x3e9e377a, v69
	v_fma_f32 v47, 0xbf737871, v36, -v40
	v_sub_f32_e32 v40, v21, v29
	v_sub_f32_e32 v36, v16, v31
	v_fmac_f32_e32 v33, 0x3e9e377a, v71
	v_mul_f32_e32 v32, 0xbf167918, v51
	v_dual_sub_f32 v42, v20, v28 :: v_dual_sub_f32 v37, v17, v47
	s_delay_alu instid0(VALU_DEP_2) | instskip(NEXT) | instid1(VALU_DEP_1)
	v_dual_sub_f32 v43, v23, v33 :: v_dual_fmac_f32 v32, 0x3f4f1bbd, v70
	v_dual_sub_f32 v41, v22, v32 :: v_dual_and_b32 v70, 0xffff, v49
	s_and_saveexec_b32 s2, vcc_lo
	s_cbranch_execz .LBB0_5
; %bb.4:
	v_dual_add_f32 v17, v17, v47 :: v_dual_add_f32 v32, v22, v32
	s_delay_alu instid0(VALU_DEP_2)
	v_mul_u32_u24_e32 v22, 50, v70
	v_dual_add_f32 v19, v19, v48 :: v_dual_add_f32 v16, v16, v31
	v_dual_add_f32 v23, v23, v33 :: v_dual_add_f32 v24, v24, v26
	v_add_f32_e32 v25, v25, v27
	v_dual_add_f32 v31, v21, v29 :: v_dual_add_f32 v18, v18, v30
	v_add_lshl_u32 v21, v22, v67, 3
	v_add_f32_e32 v22, v20, v28
	ds_store_2addr_b64 v21, v[24:25], v[31:32] offset1:5
	ds_store_2addr_b64 v21, v[22:23], v[16:17] offset0:10 offset1:15
	ds_store_2addr_b64 v21, v[18:19], v[34:35] offset0:20 offset1:25
	;; [unrolled: 1-line block ×4, first 2 shown]
.LBB0_5:
	s_wait_alu 0xfffe
	s_or_b32 exec_lo, exec_lo, s2
	v_mul_lo_u16 v16, v46, 41
	global_wb scope:SCOPE_SE
	s_wait_dscnt 0x0
	s_barrier_signal -1
	s_barrier_wait -1
	global_inv scope:SCOPE_SE
	v_lshrrev_b16 v46, 11, v16
	s_add_nc_u64 s[2:3], s[8:9], 0x2710
	s_delay_alu instid0(VALU_DEP_1) | instskip(NEXT) | instid1(VALU_DEP_1)
	v_mul_lo_u16 v16, v46, 50
	v_sub_nc_u16 v16, v65, v16
	s_delay_alu instid0(VALU_DEP_1) | instskip(NEXT) | instid1(VALU_DEP_1)
	v_and_b32_e32 v47, 0xff, v16
	v_lshlrev_b32_e32 v16, 5, v47
	s_clause 0x1
	global_load_b128 v[20:23], v16, s[10:11] offset:360
	global_load_b128 v[16:19], v16, s[10:11] offset:376
	v_add_nc_u32_e32 v77, 0xf80, v66
	ds_load_2addr_b64 v[24:27], v66 offset1:250
	ds_load_2addr_b64 v[28:31], v77 offset0:4 offset1:254
	ds_load_b64 v[32:33], v66 offset:8000
	v_and_b32_e32 v46, 0xffff, v46
	v_lshlrev_b32_e32 v48, 5, v65
	global_wb scope:SCOPE_SE
	s_wait_loadcnt_dscnt 0x0
	s_barrier_signal -1
	s_barrier_wait -1
	global_inv scope:SCOPE_SE
	v_mul_f32_e32 v49, v29, v23
	v_mul_f32_e32 v73, v32, v19
	v_mul_u32_u24_e32 v46, 0xfa, v46
	v_dual_mul_f32 v50, v28, v23 :: v_dual_mul_f32 v51, v31, v17
	v_dual_mul_f32 v72, v33, v19 :: v_dual_mul_f32 v71, v30, v17
	s_delay_alu instid0(VALU_DEP_3) | instskip(NEXT) | instid1(VALU_DEP_3)
	v_add_lshl_u32 v69, v46, v47, 3
	v_fmac_f32_e32 v50, v29, v22
	v_mul_f32_e32 v46, v27, v21
	v_mul_f32_e32 v47, v26, v21
	v_fmac_f32_e32 v71, v31, v16
	v_fma_f32 v32, v32, v18, -v72
	s_delay_alu instid0(VALU_DEP_4) | instskip(NEXT) | instid1(VALU_DEP_3)
	v_fma_f32 v26, v26, v20, -v46
	v_dual_fmac_f32 v47, v27, v20 :: v_dual_sub_f32 v46, v50, v71
	v_fma_f32 v27, v28, v22, -v49
	v_fma_f32 v28, v30, v16, -v51
	v_fmac_f32_e32 v73, v33, v18
	v_dual_add_f32 v29, v24, v26 :: v_dual_add_f32 v76, v50, v71
	s_delay_alu instid0(VALU_DEP_4) | instskip(NEXT) | instid1(VALU_DEP_4)
	v_dual_sub_f32 v31, v26, v27 :: v_dual_sub_f32 v72, v27, v26
	v_add_f32_e32 v30, v27, v28
	s_delay_alu instid0(VALU_DEP_4)
	v_dual_add_f32 v51, v26, v32 :: v_dual_add_f32 v82, v47, v73
	v_dual_sub_f32 v33, v47, v73 :: v_dual_sub_f32 v74, v28, v32
	v_dual_sub_f32 v49, v32, v28 :: v_dual_sub_f32 v80, v47, v50
	v_dual_add_f32 v75, v25, v47 :: v_dual_sub_f32 v78, v26, v32
	v_fma_f32 v26, -0.5, v30, v24
	v_sub_f32_e32 v81, v73, v71
	v_fma_f32 v24, -0.5, v51, v24
	v_add_f32_e32 v29, v29, v27
	v_sub_f32_e32 v79, v27, v28
	v_fma_f32 v27, -0.5, v76, v25
	v_sub_f32_e32 v47, v50, v47
	v_add_f32_e32 v51, v72, v74
	v_fma_f32 v25, -0.5, v82, v25
	v_dual_add_f32 v72, v29, v28 :: v_dual_add_f32 v49, v31, v49
	v_dual_add_f32 v31, v75, v50 :: v_dual_fmamk_f32 v28, v33, 0x3f737871, v26
	v_fmac_f32_e32 v26, 0xbf737871, v33
	v_add_f32_e32 v50, v80, v81
	v_dual_sub_f32 v83, v71, v73 :: v_dual_fmamk_f32 v30, v46, 0xbf737871, v24
	v_fmac_f32_e32 v24, 0x3f737871, v46
	v_fmamk_f32 v29, v78, 0xbf737871, v27
	v_fmac_f32_e32 v27, 0x3f737871, v78
	s_delay_alu instid0(VALU_DEP_4) | instskip(NEXT) | instid1(VALU_DEP_4)
	v_dual_add_f32 v47, v47, v83 :: v_dual_fmac_f32 v28, 0x3f167918, v46
	v_dual_fmac_f32 v24, 0xbf167918, v33 :: v_dual_add_f32 v71, v31, v71
	v_fmac_f32_e32 v26, 0xbf167918, v46
	v_fmamk_f32 v31, v79, 0x3f737871, v25
	v_fmac_f32_e32 v25, 0xbf737871, v79
	v_fmac_f32_e32 v29, 0xbf167918, v79
	v_dual_fmac_f32 v30, 0x3f167918, v33 :: v_dual_fmac_f32 v27, 0x3f167918, v79
	s_delay_alu instid0(VALU_DEP_4) | instskip(NEXT) | instid1(VALU_DEP_4)
	v_fmac_f32_e32 v31, 0xbf167918, v78
	v_dual_fmac_f32 v25, 0x3f167918, v78 :: v_dual_add_f32 v32, v72, v32
	s_delay_alu instid0(VALU_DEP_3) | instskip(SKIP_1) | instid1(VALU_DEP_4)
	v_dual_add_f32 v33, v71, v73 :: v_dual_fmac_f32 v30, 0x3e9e377a, v51
	v_dual_fmac_f32 v28, 0x3e9e377a, v49 :: v_dual_fmac_f32 v29, 0x3e9e377a, v50
	v_dual_fmac_f32 v26, 0x3e9e377a, v49 :: v_dual_fmac_f32 v31, 0x3e9e377a, v47
	;; [unrolled: 1-line block ×3, first 2 shown]
	v_fmac_f32_e32 v25, 0x3e9e377a, v47
	ds_store_2addr_b64 v69, v[32:33], v[28:29] offset1:50
	ds_store_2addr_b64 v69, v[30:31], v[24:25] offset0:100 offset1:150
	ds_store_b64 v69, v[26:27] offset:1600
	global_wb scope:SCOPE_SE
	s_wait_dscnt 0x0
	s_barrier_signal -1
	s_barrier_wait -1
	global_inv scope:SCOPE_SE
	s_clause 0x1
	global_load_b128 v[28:31], v48, s[10:11] offset:1960
	global_load_b128 v[24:27], v48, s[10:11] offset:1976
	ds_load_2addr_b64 v[46:49], v66 offset1:250
	ds_load_2addr_b64 v[71:74], v77 offset0:4 offset1:254
	ds_load_b64 v[32:33], v66 offset:8000
	s_wait_loadcnt_dscnt 0x102
	v_mul_f32_e32 v50, v49, v29
	s_wait_loadcnt_dscnt 0x1
	v_mul_f32_e32 v78, v74, v25
	v_dual_mul_f32 v51, v48, v29 :: v_dual_mul_f32 v76, v71, v31
	s_wait_dscnt 0x0
	v_mul_f32_e32 v80, v33, v27
	v_fma_f32 v48, v48, v28, -v50
	v_fma_f32 v50, v73, v24, -v78
	v_mul_f32_e32 v75, v72, v31
	v_dual_fmac_f32 v76, v72, v30 :: v_dual_fmac_f32 v51, v49, v28
	s_delay_alu instid0(VALU_DEP_2) | instskip(SKIP_2) | instid1(VALU_DEP_3)
	v_fma_f32 v49, v71, v30, -v75
	v_fma_f32 v71, v32, v26, -v80
	v_mul_f32_e32 v79, v73, v25
	v_sub_f32_e32 v80, v49, v48
	s_delay_alu instid0(VALU_DEP_2)
	v_dual_add_f32 v78, v48, v71 :: v_dual_fmac_f32 v79, v74, v24
	v_sub_f32_e32 v74, v48, v49
	v_sub_f32_e32 v85, v48, v71
	;; [unrolled: 1-line block ×4, first 2 shown]
	v_add_f32_e32 v84, v76, v79
	v_dual_mul_f32 v81, v32, v27 :: v_dual_add_f32 v32, v46, v48
	v_sub_f32_e32 v48, v51, v76
	v_sub_f32_e32 v75, v71, v50
	v_add_f32_e32 v83, v47, v51
	s_delay_alu instid0(VALU_DEP_4) | instskip(NEXT) | instid1(VALU_DEP_3)
	v_fmac_f32_e32 v81, v33, v26
	v_dual_add_f32 v33, v49, v50 :: v_dual_add_f32 v74, v74, v75
	s_delay_alu instid0(VALU_DEP_2)
	v_sub_f32_e32 v72, v51, v81
	v_add_f32_e32 v49, v32, v49
	v_dual_add_f32 v88, v51, v81 :: v_dual_sub_f32 v51, v76, v51
	v_sub_f32_e32 v89, v79, v81
	v_sub_f32_e32 v73, v76, v79
	v_add_f32_e32 v75, v80, v82
	v_add_f32_e32 v82, v49, v50
	;; [unrolled: 1-line block ×3, first 2 shown]
	v_fma_f32 v32, -0.5, v33, v46
	v_sub_f32_e32 v87, v81, v79
	v_fma_f32 v46, -0.5, v78, v46
	v_fma_f32 v33, -0.5, v84, v47
	;; [unrolled: 1-line block ×3, first 2 shown]
	v_add_f32_e32 v76, v76, v79
	v_add_f32_e32 v78, v48, v87
	v_fmamk_f32 v48, v72, 0x3f737871, v32
	v_add_f32_e32 v80, v51, v89
	v_fmac_f32_e32 v32, 0xbf737871, v72
	v_fmamk_f32 v50, v73, 0xbf737871, v46
	v_fmac_f32_e32 v46, 0x3f737871, v73
	v_fmamk_f32 v49, v85, 0xbf737871, v33
	v_fmamk_f32 v51, v86, 0x3f737871, v47
	v_fmac_f32_e32 v47, 0xbf737871, v86
	v_fmac_f32_e32 v33, 0x3f737871, v85
	v_dual_add_f32 v71, v82, v71 :: v_dual_fmac_f32 v48, 0x3f167918, v73
	v_fmac_f32_e32 v50, 0x3f167918, v72
	v_dual_fmac_f32 v46, 0xbf167918, v72 :: v_dual_fmac_f32 v51, 0xbf167918, v85
	v_add_f32_e32 v72, v76, v81
	v_dual_fmac_f32 v32, 0xbf167918, v73 :: v_dual_fmac_f32 v49, 0xbf167918, v86
	v_fmac_f32_e32 v47, 0x3f167918, v85
	v_fmac_f32_e32 v33, 0x3f167918, v86
	v_dual_fmac_f32 v48, 0x3e9e377a, v74 :: v_dual_fmac_f32 v51, 0x3e9e377a, v80
	s_delay_alu instid0(VALU_DEP_4) | instskip(NEXT) | instid1(VALU_DEP_4)
	v_dual_fmac_f32 v50, 0x3e9e377a, v75 :: v_dual_fmac_f32 v49, 0x3e9e377a, v78
	v_dual_fmac_f32 v32, 0x3e9e377a, v74 :: v_dual_fmac_f32 v47, 0x3e9e377a, v80
	s_delay_alu instid0(VALU_DEP_4)
	v_dual_fmac_f32 v46, 0x3e9e377a, v75 :: v_dual_fmac_f32 v33, 0x3e9e377a, v78
	ds_store_2addr_b64 v66, v[71:72], v[48:49] offset1:250
	ds_store_2addr_b64 v77, v[50:51], v[46:47] offset0:4 offset1:254
	ds_store_b64 v66, v[32:33] offset:8000
	global_wb scope:SCOPE_SE
	s_wait_dscnt 0x0
	s_barrier_signal -1
	s_barrier_wait -1
	global_inv scope:SCOPE_SE
	s_clause 0x4
	global_load_b64 v[32:33], v[44:45], off offset:10000
	global_load_b64 v[48:49], v66, s[2:3] offset:2000
	global_load_b64 v[50:51], v66, s[2:3] offset:4000
	;; [unrolled: 1-line block ×4, first 2 shown]
	ds_load_2addr_b64 v[44:47], v66 offset1:250
	s_wait_loadcnt_dscnt 0x400
	v_mul_f32_e32 v75, v45, v33
	v_mul_f32_e32 v76, v44, v33
	s_wait_loadcnt 0x3
	v_mul_f32_e32 v78, v47, v49
	v_mul_f32_e32 v33, v46, v49
	v_fma_f32 v75, v44, v32, -v75
	v_fmac_f32_e32 v76, v45, v32
	s_delay_alu instid0(VALU_DEP_4) | instskip(NEXT) | instid1(VALU_DEP_4)
	v_fma_f32 v32, v46, v48, -v78
	v_fmac_f32_e32 v33, v47, v48
	ds_store_2addr_b64 v66, v[75:76], v[32:33] offset1:250
	ds_load_2addr_b64 v[44:47], v77 offset0:4 offset1:254
	ds_load_b64 v[32:33], v66 offset:8000
	s_wait_loadcnt_dscnt 0x201
	v_mul_f32_e32 v48, v45, v51
	v_mul_f32_e32 v49, v44, v51
	s_wait_loadcnt 0x1
	v_mul_f32_e32 v75, v47, v72
	s_wait_loadcnt_dscnt 0x0
	v_dual_mul_f32 v51, v46, v72 :: v_dual_mul_f32 v72, v32, v74
	v_mul_f32_e32 v76, v33, v74
	v_fma_f32 v48, v44, v50, -v48
	s_delay_alu instid0(VALU_DEP_3)
	v_dual_fmac_f32 v51, v47, v71 :: v_dual_fmac_f32 v72, v33, v73
	v_fmac_f32_e32 v49, v45, v50
	v_fma_f32 v50, v46, v71, -v75
	v_fma_f32 v71, v32, v73, -v76
	ds_store_2addr_b64 v77, v[48:49], v[50:51] offset0:4 offset1:254
	ds_store_b64 v66, v[71:72] offset:8000
	global_wb scope:SCOPE_SE
	s_wait_dscnt 0x0
	s_barrier_signal -1
	s_barrier_wait -1
	global_inv scope:SCOPE_SE
	ds_load_2addr_b64 v[44:47], v66 offset1:250
	ds_load_2addr_b64 v[71:74], v77 offset0:4 offset1:254
	ds_load_b64 v[75:76], v66 offset:8000
	global_wb scope:SCOPE_SE
	s_wait_dscnt 0x0
	s_barrier_signal -1
	s_barrier_wait -1
	global_inv scope:SCOPE_SE
	v_dual_add_f32 v32, v44, v46 :: v_dual_add_f32 v33, v71, v73
	v_sub_f32_e32 v82, v46, v75
	v_add_f32_e32 v50, v46, v75
	v_sub_f32_e32 v78, v72, v74
	v_dual_sub_f32 v48, v46, v71 :: v_dual_sub_f32 v49, v75, v73
	v_sub_f32_e32 v86, v74, v76
	s_delay_alu instid0(VALU_DEP_4)
	v_fma_f32 v50, -0.5, v50, v44
	v_sub_f32_e32 v77, v47, v76
	v_sub_f32_e32 v79, v73, v75
	v_dual_add_f32 v80, v45, v47 :: v_dual_sub_f32 v51, v71, v46
	v_sub_f32_e32 v46, v47, v72
	v_sub_f32_e32 v84, v76, v74
	v_add_f32_e32 v81, v72, v74
	v_dual_add_f32 v87, v48, v49 :: v_dual_fmamk_f32 v48, v78, 0x3f737871, v50
	v_sub_f32_e32 v83, v71, v73
	v_add_f32_e32 v71, v32, v71
	v_fma_f32 v32, -0.5, v33, v44
	v_add_f32_e32 v85, v47, v76
	v_dual_sub_f32 v47, v72, v47 :: v_dual_fmac_f32 v50, 0xbf737871, v78
	v_add_f32_e32 v44, v80, v72
	v_add_f32_e32 v72, v46, v84
	v_fma_f32 v33, -0.5, v81, v45
	v_dual_fmamk_f32 v46, v77, 0xbf737871, v32 :: v_dual_add_f32 v79, v51, v79
	v_fmac_f32_e32 v32, 0x3f737871, v77
	v_fma_f32 v51, -0.5, v85, v45
	v_add_f32_e32 v80, v47, v86
	s_delay_alu instid0(VALU_DEP_4)
	v_fmac_f32_e32 v46, 0xbf167918, v78
	v_fmamk_f32 v47, v82, 0x3f737871, v33
	v_fmac_f32_e32 v33, 0xbf737871, v82
	v_fmamk_f32 v49, v83, 0xbf737871, v51
	v_fmac_f32_e32 v51, 0x3f737871, v83
	v_dual_add_f32 v45, v71, v73 :: v_dual_fmac_f32 v32, 0x3f167918, v78
	v_dual_add_f32 v71, v44, v74 :: v_dual_fmac_f32 v48, 0xbf167918, v77
	v_dual_fmac_f32 v50, 0x3f167918, v77 :: v_dual_fmac_f32 v47, 0x3f167918, v83
	v_fmac_f32_e32 v33, 0xbf167918, v83
	v_fmac_f32_e32 v49, 0x3f167918, v82
	v_dual_fmac_f32 v51, 0xbf167918, v82 :: v_dual_add_f32 v44, v45, v75
	v_dual_add_f32 v45, v71, v76 :: v_dual_fmac_f32 v46, 0x3e9e377a, v87
	v_dual_fmac_f32 v47, 0x3e9e377a, v72 :: v_dual_fmac_f32 v32, 0x3e9e377a, v87
	s_delay_alu instid0(VALU_DEP_4) | instskip(NEXT) | instid1(VALU_DEP_4)
	v_dual_fmac_f32 v49, 0x3e9e377a, v80 :: v_dual_fmac_f32 v48, 0x3e9e377a, v79
	v_dual_fmac_f32 v51, 0x3e9e377a, v80 :: v_dual_fmac_f32 v50, 0x3e9e377a, v79
	v_fmac_f32_e32 v33, 0x3e9e377a, v72
	ds_store_2addr_b64 v68, v[44:45], v[46:47] offset1:1
	ds_store_2addr_b64 v68, v[48:49], v[50:51] offset0:2 offset1:3
	ds_store_b64 v68, v[32:33] offset:32
	global_wb scope:SCOPE_SE
	s_wait_dscnt 0x0
	s_barrier_signal -1
	s_barrier_wait -1
	global_inv scope:SCOPE_SE
	s_and_saveexec_b32 s2, vcc_lo
	s_cbranch_execz .LBB0_7
; %bb.6:
	v_add_nc_u32_e32 v32, 0x400, v66
	v_add_nc_u32_e32 v33, 0xc00, v66
	;; [unrolled: 1-line block ×4, first 2 shown]
	ds_load_2addr_b64 v[44:47], v66 offset1:125
	ds_load_2addr_b64 v[48:51], v32 offset0:122 offset1:247
	ds_load_2addr_b64 v[32:35], v33 offset0:116 offset1:241
	;; [unrolled: 1-line block ×4, first 2 shown]
.LBB0_7:
	s_wait_alu 0xfffe
	s_or_b32 exec_lo, exec_lo, s2
	global_wb scope:SCOPE_SE
	s_wait_dscnt 0x0
	s_barrier_signal -1
	s_barrier_wait -1
	global_inv scope:SCOPE_SE
	s_and_saveexec_b32 s2, vcc_lo
	s_cbranch_execz .LBB0_9
; %bb.8:
	v_mul_f32_e32 v73, v11, v36
	v_mul_f32_e32 v11, v11, v37
	;; [unrolled: 1-line block ×4, first 2 shown]
	s_delay_alu instid0(VALU_DEP_4) | instskip(NEXT) | instid1(VALU_DEP_4)
	v_fma_f32 v37, v10, v37, -v73
	v_fmac_f32_e32 v11, v10, v36
	s_delay_alu instid0(VALU_DEP_4) | instskip(SKIP_1) | instid1(VALU_DEP_1)
	v_fmac_f32_e32 v74, v6, v48
	v_mul_f32_e32 v68, v3, v32
	v_fma_f32 v68, v2, v33, -v68
	v_mul_f32_e32 v72, v7, v48
	v_dual_mul_f32 v33, v3, v33 :: v_dual_mul_f32 v48, v13, v35
	v_mul_f32_e32 v15, v15, v41
	v_fma_f32 v71, v14, v41, -v71
	s_delay_alu instid0(VALU_DEP_4) | instskip(NEXT) | instid1(VALU_DEP_4)
	v_fma_f32 v7, v6, v49, -v72
	v_dual_mul_f32 v41, v1, v51 :: v_dual_fmac_f32 v48, v12, v34
	v_dual_fmac_f32 v33, v2, v32 :: v_dual_mul_f32 v2, v64, v39
	s_delay_alu instid0(VALU_DEP_3) | instskip(SKIP_4) | instid1(VALU_DEP_4)
	v_sub_f32_e32 v6, v7, v68
	v_dual_fmac_f32 v15, v14, v40 :: v_dual_mul_f32 v14, v9, v43
	v_mul_f32_e32 v1, v1, v50
	v_dual_fmac_f32 v41, v0, v50 :: v_dual_mul_f32 v32, v5, v47
	v_add_f32_e32 v49, v68, v71
	v_fmac_f32_e32 v14, v8, v42
	s_delay_alu instid0(VALU_DEP_4) | instskip(NEXT) | instid1(VALU_DEP_4)
	v_fma_f32 v0, v0, v51, -v1
	v_sub_f32_e32 v1, v41, v48
	v_mul_f32_e32 v13, v13, v34
	v_fmac_f32_e32 v32, v4, v46
	v_fma_f32 v36, -0.5, v49, v45
	v_dual_sub_f32 v3, v74, v11 :: v_dual_fmac_f32 v2, v63, v38
	s_delay_alu instid0(VALU_DEP_4) | instskip(SKIP_4) | instid1(VALU_DEP_4)
	v_fma_f32 v12, v12, v35, -v13
	v_dual_add_f32 v13, v48, v14 :: v_dual_sub_f32 v10, v37, v71
	v_add_f32_e32 v50, v7, v37
	v_sub_f32_e32 v72, v71, v37
	v_sub_f32_e32 v78, v14, v2
	v_fma_f32 v13, -0.5, v13, v32
	v_mul_f32_e32 v9, v9, v42
	v_sub_f32_e32 v42, v48, v14
	v_fma_f32 v50, -0.5, v50, v45
	v_add_f32_e32 v6, v6, v10
	s_delay_alu instid0(VALU_DEP_4) | instskip(SKIP_3) | instid1(VALU_DEP_3)
	v_fma_f32 v8, v8, v43, -v9
	v_mul_f32_e32 v9, v64, v38
	v_dual_sub_f32 v38, v0, v12 :: v_dual_sub_f32 v43, v2, v14
	v_add_f32_e32 v64, v41, v2
	v_fma_f32 v9, v63, v39, -v9
	s_delay_alu instid0(VALU_DEP_3) | instskip(NEXT) | instid1(VALU_DEP_2)
	v_add_f32_e32 v43, v1, v43
	v_sub_f32_e32 v39, v9, v8
	v_mul_f32_e32 v5, v5, v46
	v_add_f32_e32 v51, v0, v9
	v_fma_f32 v64, -0.5, v64, v32
	v_sub_f32_e32 v76, v8, v9
	v_add_f32_e32 v38, v38, v39
	v_fma_f32 v4, v4, v47, -v5
	v_fmamk_f32 v39, v3, 0xbf737871, v36
	v_add_f32_e32 v5, v12, v8
	v_dual_sub_f32 v47, v12, v8 :: v_dual_fmac_f32 v36, 0x3f737871, v3
	s_delay_alu instid0(VALU_DEP_4) | instskip(SKIP_1) | instid1(VALU_DEP_4)
	v_fma_f32 v51, -0.5, v51, v4
	v_sub_f32_e32 v75, v12, v0
	v_fma_f32 v34, -0.5, v5, v4
	v_sub_f32_e32 v5, v41, v2
	v_fmamk_f32 v79, v47, 0xbf737871, v64
	v_fmac_f32_e32 v64, 0x3f737871, v47
	s_delay_alu instid0(VALU_DEP_3) | instskip(NEXT) | instid1(VALU_DEP_1)
	v_fmamk_f32 v40, v5, 0xbf737871, v34
	v_dual_fmac_f32 v40, 0xbf167918, v42 :: v_dual_sub_f32 v35, v0, v9
	v_add_f32_e32 v0, v4, v0
	v_sub_f32_e32 v4, v7, v37
	s_delay_alu instid0(VALU_DEP_3) | instskip(NEXT) | instid1(VALU_DEP_4)
	v_fmac_f32_e32 v40, 0x3e9e377a, v38
	v_fmamk_f32 v46, v35, 0x3f737871, v13
	v_fmac_f32_e32 v64, 0xbf167918, v35
	v_dual_fmac_f32 v13, 0xbf737871, v35 :: v_dual_add_f32 v0, v0, v12
	s_delay_alu instid0(VALU_DEP_4) | instskip(NEXT) | instid1(VALU_DEP_4)
	v_mul_f32_e32 v10, 0xbf4f1bbd, v40
	v_fmac_f32_e32 v46, 0x3f167918, v47
	v_fmac_f32_e32 v34, 0x3f737871, v5
	s_delay_alu instid0(VALU_DEP_4) | instskip(SKIP_1) | instid1(VALU_DEP_4)
	v_dual_fmac_f32 v13, 0xbf167918, v47 :: v_dual_add_f32 v0, v0, v8
	v_sub_f32_e32 v12, v11, v15
	v_fmac_f32_e32 v46, 0x3e9e377a, v43
	s_delay_alu instid0(VALU_DEP_4) | instskip(NEXT) | instid1(VALU_DEP_4)
	v_dual_sub_f32 v49, v33, v15 :: v_dual_fmac_f32 v34, 0x3f167918, v42
	v_fmac_f32_e32 v13, 0x3e9e377a, v43
	v_add_f32_e32 v8, v74, v11
	s_delay_alu instid0(VALU_DEP_4) | instskip(NEXT) | instid1(VALU_DEP_4)
	v_fmac_f32_e32 v10, 0x3f167918, v46
	v_fmac_f32_e32 v39, 0xbf167918, v49
	v_dual_fmamk_f32 v80, v49, 0x3f737871, v50 :: v_dual_sub_f32 v73, v48, v41
	v_fmac_f32_e32 v34, 0x3e9e377a, v38
	s_delay_alu instid0(VALU_DEP_3) | instskip(SKIP_1) | instid1(VALU_DEP_4)
	v_dual_add_f32 v38, v33, v15 :: v_dual_fmac_f32 v39, 0x3e9e377a, v6
	v_dual_fmac_f32 v79, 0x3f167918, v35 :: v_dual_fmac_f32 v36, 0x3f167918, v49
	v_dual_fmac_f32 v80, 0xbf167918, v3 :: v_dual_add_f32 v73, v73, v78
	s_delay_alu instid0(VALU_DEP_3) | instskip(NEXT) | instid1(VALU_DEP_3)
	v_dual_fmac_f32 v50, 0xbf737871, v49 :: v_dual_sub_f32 v1, v39, v10
	v_dual_add_f32 v75, v75, v76 :: v_dual_fmac_f32 v36, 0x3e9e377a, v6
	s_delay_alu instid0(VALU_DEP_3) | instskip(SKIP_4) | instid1(VALU_DEP_4)
	v_fmac_f32_e32 v79, 0x3e9e377a, v73
	v_fmamk_f32 v77, v42, 0x3f737871, v51
	v_dual_fmac_f32 v51, 0xbf737871, v42 :: v_dual_add_f32 v6, v45, v7
	v_fmac_f32_e32 v64, 0x3e9e377a, v73
	v_fmac_f32_e32 v50, 0x3f167918, v3
	;; [unrolled: 1-line block ×3, first 2 shown]
	s_delay_alu instid0(VALU_DEP_4) | instskip(SKIP_2) | instid1(VALU_DEP_4)
	v_fmac_f32_e32 v51, 0x3f167918, v5
	v_mul_f32_e32 v35, 0x3f4f1bbd, v34
	v_fma_f32 v38, -0.5, v38, v44
	v_dual_add_f32 v6, v6, v68 :: v_dual_fmac_f32 v77, 0x3e9e377a, v75
	v_sub_f32_e32 v63, v68, v7
	s_delay_alu instid0(VALU_DEP_4) | instskip(SKIP_1) | instid1(VALU_DEP_4)
	v_fmac_f32_e32 v35, 0x3f167918, v13
	v_sub_f32_e32 v7, v74, v33
	v_add_f32_e32 v6, v6, v71
	v_sub_f32_e32 v43, v68, v71
	v_dual_add_f32 v63, v63, v72 :: v_dual_mul_f32 v72, 0xbe9e377a, v77
	s_delay_alu instid0(VALU_DEP_4) | instskip(SKIP_1) | instid1(VALU_DEP_3)
	v_add_f32_e32 v12, v7, v12
	v_dual_mul_f32 v40, 0xbf167918, v40 :: v_dual_sub_f32 v7, v36, v35
	v_fmac_f32_e32 v80, 0x3e9e377a, v63
	v_dual_fmac_f32 v51, 0x3e9e377a, v75 :: v_dual_add_f32 v6, v6, v37
	v_add_f32_e32 v37, v0, v9
	v_fma_f32 v45, -0.5, v8, v44
	v_fmac_f32_e32 v50, 0x3e9e377a, v63
	s_delay_alu instid0(VALU_DEP_4) | instskip(SKIP_1) | instid1(VALU_DEP_4)
	v_dual_mul_f32 v73, 0x3e9e377a, v51 :: v_dual_sub_f32 v0, v33, v74
	v_sub_f32_e32 v8, v15, v11
	v_fmamk_f32 v47, v43, 0xbf737871, v45
	v_dual_fmamk_f32 v42, v4, 0x3f737871, v38 :: v_dual_sub_f32 v9, v6, v37
	s_delay_alu instid0(VALU_DEP_4) | instskip(SKIP_1) | instid1(VALU_DEP_3)
	v_fmac_f32_e32 v73, 0x3f737871, v64
	v_fmac_f32_e32 v38, 0xbf737871, v4
	v_dual_fmac_f32 v47, 0x3f167918, v4 :: v_dual_fmac_f32 v42, 0x3f167918, v43
	v_dual_fmac_f32 v45, 0x3f737871, v43 :: v_dual_add_f32 v32, v32, v41
	v_dual_mul_f32 v41, 0xbf737871, v77 :: v_dual_add_f32 v8, v0, v8
	s_delay_alu instid0(VALU_DEP_4) | instskip(NEXT) | instid1(VALU_DEP_3)
	v_dual_fmac_f32 v38, 0xbf167918, v43 :: v_dual_mul_f32 v43, 0xbf167918, v34
	v_dual_add_f32 v44, v44, v74 :: v_dual_fmac_f32 v45, 0xbf167918, v4
	s_delay_alu instid0(VALU_DEP_3) | instskip(SKIP_1) | instid1(VALU_DEP_4)
	v_fmac_f32_e32 v47, 0x3e9e377a, v8
	v_fmac_f32_e32 v42, 0x3e9e377a, v12
	v_dual_add_f32 v32, v32, v48 :: v_dual_fmac_f32 v43, 0x3f4f1bbd, v13
	s_delay_alu instid0(VALU_DEP_4) | instskip(NEXT) | instid1(VALU_DEP_2)
	v_dual_add_f32 v33, v44, v33 :: v_dual_mul_f32 v44, 0xbf737871, v51
	v_dual_fmac_f32 v45, 0x3e9e377a, v8 :: v_dual_add_f32 v8, v32, v14
	v_fmac_f32_e32 v72, 0x3f737871, v79
	s_delay_alu instid0(VALU_DEP_3) | instskip(SKIP_2) | instid1(VALU_DEP_4)
	v_add_f32_e32 v4, v33, v15
	v_fmac_f32_e32 v40, 0xbf4f1bbd, v46
	v_dual_fmac_f32 v38, 0x3e9e377a, v12 :: v_dual_add_f32 v33, v36, v35
	v_add_f32_e32 v13, v80, v72
	s_delay_alu instid0(VALU_DEP_4)
	v_dual_add_f32 v14, v4, v11 :: v_dual_add_f32 v11, v39, v10
	v_fmac_f32_e32 v44, 0x3e9e377a, v64
	v_mul_u32_u24_e32 v10, 50, v70
	v_dual_add_f32 v35, v6, v37 :: v_dual_add_f32 v2, v8, v2
	v_dual_sub_f32 v0, v42, v40 :: v_dual_fmac_f32 v41, 0xbe9e377a, v79
	v_add_f32_e32 v32, v38, v43
	s_delay_alu instid0(VALU_DEP_4) | instskip(NEXT) | instid1(VALU_DEP_4)
	v_add_lshl_u32 v36, v10, v67, 3
	v_add_f32_e32 v34, v14, v2
	v_sub_f32_e32 v8, v14, v2
	v_add_f32_e32 v15, v50, v73
	v_add_f32_e32 v12, v47, v41
	;; [unrolled: 1-line block ×4, first 2 shown]
	v_dual_sub_f32 v5, v50, v73 :: v_dual_sub_f32 v4, v45, v44
	v_dual_sub_f32 v6, v38, v43 :: v_dual_sub_f32 v3, v80, v72
	v_sub_f32_e32 v2, v47, v41
	ds_store_2addr_b64 v36, v[34:35], v[32:33] offset1:5
	ds_store_2addr_b64 v36, v[14:15], v[12:13] offset0:10 offset1:15
	ds_store_2addr_b64 v36, v[10:11], v[8:9] offset0:20 offset1:25
	;; [unrolled: 1-line block ×4, first 2 shown]
.LBB0_9:
	s_wait_alu 0xfffe
	s_or_b32 exec_lo, exec_lo, s2
	global_wb scope:SCOPE_SE
	s_wait_dscnt 0x0
	s_barrier_signal -1
	s_barrier_wait -1
	global_inv scope:SCOPE_SE
	ds_load_2addr_b64 v[0:3], v66 offset1:250
	v_add_nc_u32_e32 v10, 0xf80, v66
	s_mov_b32 s2, 0xeb1c432d
	s_mov_b32 s3, 0x3f4a36e2
	s_wait_dscnt 0x0
	v_mul_f32_e32 v11, v21, v3
	ds_load_b64 v[8:9], v66 offset:8000
	ds_load_2addr_b64 v[4:7], v10 offset0:4 offset1:254
	v_mul_f32_e32 v12, v21, v2
	global_wb scope:SCOPE_SE
	s_wait_dscnt 0x0
	s_barrier_signal -1
	s_barrier_wait -1
	global_inv scope:SCOPE_SE
	v_fmac_f32_e32 v11, v20, v2
	v_mul_f32_e32 v13, v19, v9
	v_mul_f32_e32 v14, v19, v8
	v_fma_f32 v12, v20, v3, -v12
	v_mul_f32_e32 v3, v23, v5
	v_dual_mul_f32 v2, v23, v4 :: v_dual_mul_f32 v15, v17, v7
	s_delay_alu instid0(VALU_DEP_4) | instskip(NEXT) | instid1(VALU_DEP_2)
	v_fma_f32 v9, v18, v9, -v14
	v_fma_f32 v14, v22, v5, -v2
	v_add_f32_e32 v2, v0, v11
	s_delay_alu instid0(VALU_DEP_4) | instskip(SKIP_1) | instid1(VALU_DEP_1)
	v_fmac_f32_e32 v15, v16, v6
	v_fmac_f32_e32 v3, v22, v4
	v_dual_fmac_f32 v13, v18, v8 :: v_dual_add_f32 v8, v3, v15
	s_delay_alu instid0(VALU_DEP_1) | instskip(SKIP_2) | instid1(VALU_DEP_3)
	v_dual_mul_f32 v17, v17, v6 :: v_dual_add_f32 v4, v11, v13
	v_sub_f32_e32 v20, v13, v15
	v_dual_add_f32 v6, v2, v3 :: v_dual_add_f32 v5, v1, v12
	v_fma_f32 v16, v16, v7, -v17
	v_sub_f32_e32 v7, v12, v9
	v_fma_f32 v2, -0.5, v4, v0
	v_fma_f32 v4, -0.5, v8, v0
	v_add_f32_e32 v8, v6, v15
	v_dual_sub_f32 v18, v14, v16 :: v_dual_sub_f32 v17, v11, v13
	v_dual_add_f32 v22, v5, v14 :: v_dual_add_f32 v5, v14, v16
	s_delay_alu instid0(VALU_DEP_4) | instskip(NEXT) | instid1(VALU_DEP_3)
	v_fmamk_f32 v6, v7, 0xbf737871, v4
	v_dual_sub_f32 v19, v11, v3 :: v_dual_fmamk_f32 v0, v18, 0x3f737871, v2
	v_dual_sub_f32 v21, v15, v13 :: v_dual_fmac_f32 v4, 0x3f737871, v7
	v_dual_sub_f32 v11, v3, v11 :: v_dual_fmac_f32 v2, 0xbf737871, v18
	v_fma_f32 v5, -0.5, v5, v1
	s_delay_alu instid0(VALU_DEP_4) | instskip(NEXT) | instid1(VALU_DEP_4)
	v_dual_add_f32 v19, v19, v20 :: v_dual_add_f32 v8, v8, v13
	v_dual_fmac_f32 v4, 0x3f167918, v18 :: v_dual_add_f32 v13, v12, v9
	v_fmac_f32_e32 v0, 0xbf167918, v7
	v_fmac_f32_e32 v2, 0x3f167918, v7
	v_fmamk_f32 v7, v17, 0x3f737871, v5
	v_sub_f32_e32 v15, v3, v15
	v_fma_f32 v3, -0.5, v13, v1
	v_dual_add_f32 v11, v11, v21 :: v_dual_fmac_f32 v6, 0xbf167918, v18
	v_dual_sub_f32 v13, v12, v14 :: v_dual_sub_f32 v18, v9, v16
	s_delay_alu instid0(VALU_DEP_4)
	v_dual_sub_f32 v12, v14, v12 :: v_dual_fmac_f32 v7, 0x3f167918, v15
	v_sub_f32_e32 v14, v16, v9
	v_fmac_f32_e32 v5, 0xbf737871, v17
	v_fmamk_f32 v1, v15, 0xbf737871, v3
	v_fmac_f32_e32 v3, 0x3f737871, v15
	v_dual_fmac_f32 v6, 0x3e9e377a, v19 :: v_dual_add_f32 v13, v13, v18
	v_fmac_f32_e32 v0, 0x3e9e377a, v11
	v_dual_add_f32 v12, v12, v14 :: v_dual_fmac_f32 v5, 0xbf167918, v15
	v_dual_fmac_f32 v2, 0x3e9e377a, v11 :: v_dual_add_f32 v11, v22, v16
	v_fmac_f32_e32 v1, 0x3f167918, v17
	v_fmac_f32_e32 v3, 0xbf167918, v17
	v_dual_fmac_f32 v4, 0x3e9e377a, v19 :: v_dual_fmac_f32 v7, 0x3e9e377a, v13
	s_delay_alu instid0(VALU_DEP_4) | instskip(NEXT) | instid1(VALU_DEP_4)
	v_add_f32_e32 v9, v11, v9
	v_fmac_f32_e32 v1, 0x3e9e377a, v12
	s_delay_alu instid0(VALU_DEP_4)
	v_fmac_f32_e32 v3, 0x3e9e377a, v12
	v_fmac_f32_e32 v5, 0x3e9e377a, v13
	ds_store_2addr_b64 v69, v[8:9], v[6:7] offset1:50
	ds_store_2addr_b64 v69, v[0:1], v[2:3] offset0:100 offset1:150
	ds_store_b64 v69, v[4:5] offset:1600
	global_wb scope:SCOPE_SE
	s_wait_dscnt 0x0
	s_barrier_signal -1
	s_barrier_wait -1
	global_inv scope:SCOPE_SE
	ds_load_2addr_b64 v[0:3], v10 offset0:4 offset1:254
	ds_load_2addr_b64 v[4:7], v66 offset1:250
	ds_load_b64 v[8:9], v66 offset:8000
	v_mad_co_u64_u32 v[20:21], null, s6, v52, 0
	v_mad_co_u64_u32 v[22:23], null, s4, v65, 0
	s_wait_dscnt 0x2
	v_mul_f32_e32 v12, v25, v3
	s_wait_dscnt 0x0
	v_dual_mul_f32 v14, v29, v6 :: v_dual_mul_f32 v15, v27, v8
	s_delay_alu instid0(VALU_DEP_2) | instskip(NEXT) | instid1(VALU_DEP_2)
	v_fmac_f32_e32 v12, v24, v2
	v_fma_f32 v14, v28, v7, -v14
	s_delay_alu instid0(VALU_DEP_3) | instskip(SKIP_2) | instid1(VALU_DEP_3)
	v_fma_f32 v15, v26, v9, -v15
	v_mul_f32_e32 v13, v29, v7
	v_mul_f32_e32 v7, v27, v9
	v_sub_f32_e32 v9, v14, v15
	v_mul_f32_e32 v11, v31, v1
	s_delay_alu instid0(VALU_DEP_3) | instskip(NEXT) | instid1(VALU_DEP_2)
	v_fmac_f32_e32 v7, v26, v8
	v_fmac_f32_e32 v11, v30, v0
	v_mul_f32_e32 v0, v31, v0
	s_delay_alu instid0(VALU_DEP_3) | instskip(NEXT) | instid1(VALU_DEP_2)
	v_sub_f32_e32 v8, v7, v12
	v_fma_f32 v16, v30, v1, -v0
	s_delay_alu instid0(VALU_DEP_4) | instskip(NEXT) | instid1(VALU_DEP_1)
	v_dual_mul_f32 v1, v25, v2 :: v_dual_add_f32 v0, v11, v12
	v_fma_f32 v17, v24, v3, -v1
	s_delay_alu instid0(VALU_DEP_2) | instskip(SKIP_1) | instid1(VALU_DEP_3)
	v_fma_f32 v0, -0.5, v0, v4
	v_mad_co_u64_u32 v[24:25], null, s7, v52, v[21:22]
	v_sub_f32_e32 v18, v16, v17
	v_fmac_f32_e32 v13, v28, v6
	s_delay_alu instid0(VALU_DEP_3) | instskip(NEXT) | instid1(VALU_DEP_2)
	v_mad_co_u64_u32 v[25:26], null, s5, v65, v[23:24]
	v_dual_add_f32 v2, v4, v13 :: v_dual_add_f32 v3, v13, v7
	v_mov_b32_e32 v21, v24
	s_delay_alu instid0(VALU_DEP_2) | instskip(SKIP_3) | instid1(VALU_DEP_4)
	v_dual_add_f32 v1, v2, v11 :: v_dual_fmamk_f32 v2, v9, 0xbf737871, v0
	v_fmac_f32_e32 v0, 0x3f737871, v9
	v_sub_f32_e32 v6, v13, v11
	v_fma_f32 v4, -0.5, v3, v4
	v_dual_mov_b32 v23, v25 :: v_dual_fmac_f32 v2, 0xbf167918, v18
	s_delay_alu instid0(VALU_DEP_3) | instskip(NEXT) | instid1(VALU_DEP_3)
	v_dual_fmac_f32 v0, 0x3f167918, v18 :: v_dual_add_f32 v3, v6, v8
	v_fmamk_f32 v6, v18, 0x3f737871, v4
	v_fmac_f32_e32 v4, 0xbf737871, v18
	v_add_f32_e32 v18, v5, v14
	s_delay_alu instid0(VALU_DEP_4) | instskip(NEXT) | instid1(VALU_DEP_4)
	v_fmac_f32_e32 v0, 0x3e9e377a, v3
	v_dual_fmac_f32 v6, 0xbf167918, v9 :: v_dual_add_f32 v1, v1, v12
	s_delay_alu instid0(VALU_DEP_4) | instskip(NEXT) | instid1(VALU_DEP_4)
	v_dual_fmac_f32 v4, 0x3f167918, v9 :: v_dual_sub_f32 v19, v12, v7
	v_add_f32_e32 v9, v18, v16
	v_add_f32_e32 v18, v14, v15
	s_delay_alu instid0(VALU_DEP_4) | instskip(SKIP_3) | instid1(VALU_DEP_4)
	v_dual_add_f32 v8, v1, v7 :: v_dual_add_f32 v1, v16, v17
	v_dual_fmac_f32 v2, 0x3e9e377a, v3 :: v_dual_sub_f32 v3, v11, v13
	v_sub_f32_e32 v13, v13, v7
	v_sub_f32_e32 v11, v11, v12
	v_fma_f32 v1, -0.5, v1, v5
	v_fma_f32 v5, -0.5, v18, v5
	v_dual_sub_f32 v12, v14, v16 :: v_dual_add_f32 v7, v3, v19
	v_sub_f32_e32 v14, v16, v14
	s_delay_alu instid0(VALU_DEP_4) | instskip(SKIP_1) | instid1(VALU_DEP_4)
	v_dual_sub_f32 v18, v15, v17 :: v_dual_fmamk_f32 v3, v13, 0x3f737871, v1
	v_sub_f32_e32 v16, v17, v15
	v_fmac_f32_e32 v6, 0x3e9e377a, v7
	v_fmac_f32_e32 v4, 0x3e9e377a, v7
	s_delay_alu instid0(VALU_DEP_4)
	v_dual_add_f32 v12, v12, v18 :: v_dual_fmamk_f32 v7, v11, 0xbf737871, v5
	v_fmac_f32_e32 v5, 0x3f737871, v11
	v_fmac_f32_e32 v1, 0xbf737871, v13
	v_dual_add_f32 v9, v9, v17 :: v_dual_add_f32 v14, v14, v16
	v_fmac_f32_e32 v3, 0x3f167918, v11
	v_fmac_f32_e32 v7, 0x3f167918, v13
	;; [unrolled: 1-line block ×4, first 2 shown]
	v_add_f32_e32 v9, v9, v15
	v_fmac_f32_e32 v3, 0x3e9e377a, v12
	v_fmac_f32_e32 v7, 0x3e9e377a, v14
	;; [unrolled: 1-line block ×4, first 2 shown]
	ds_store_2addr_b64 v66, v[8:9], v[2:3] offset1:250
	ds_store_2addr_b64 v10, v[6:7], v[4:5] offset0:4 offset1:254
	ds_store_b64 v66, v[0:1] offset:8000
	global_wb scope:SCOPE_SE
	s_wait_dscnt 0x0
	s_barrier_signal -1
	s_barrier_wait -1
	global_inv scope:SCOPE_SE
	ds_load_2addr_b64 v[0:3], v66 offset1:250
	ds_load_2addr_b64 v[4:7], v10 offset0:4 offset1:254
	ds_load_b64 v[8:9], v66 offset:8000
	s_wait_dscnt 0x2
	v_mul_f32_e32 v10, v56, v1
	s_wait_dscnt 0x1
	v_dual_mul_f32 v14, v54, v5 :: v_dual_mul_f32 v11, v56, v0
	v_mul_f32_e32 v12, v58, v3
	v_dual_mul_f32 v13, v58, v2 :: v_dual_mul_f32 v16, v60, v7
	s_delay_alu instid0(VALU_DEP_3)
	v_fmac_f32_e32 v14, v53, v4
	v_dual_mul_f32 v4, v54, v4 :: v_dual_mul_f32 v17, v60, v6
	s_wait_dscnt 0x0
	v_mul_f32_e32 v18, v62, v9
	v_dual_fmac_f32 v16, v59, v6 :: v_dual_mul_f32 v19, v62, v8
	v_fmac_f32_e32 v10, v55, v0
	v_fma_f32 v11, v55, v1, -v11
	v_fmac_f32_e32 v12, v57, v2
	v_fma_f32 v13, v57, v3, -v13
	v_fma_f32 v4, v53, v5, -v4
	;; [unrolled: 1-line block ×3, first 2 shown]
	v_fmac_f32_e32 v18, v61, v8
	v_fma_f32 v19, v61, v9, -v19
	v_cvt_f64_f32_e32 v[0:1], v10
	v_cvt_f64_f32_e32 v[2:3], v11
	v_cvt_f64_f32_e32 v[10:11], v12
	v_cvt_f64_f32_e32 v[12:13], v13
	v_cvt_f64_f32_e32 v[14:15], v14
	v_cvt_f64_f32_e32 v[4:5], v4
	v_cvt_f64_f32_e32 v[6:7], v16
	v_cvt_f64_f32_e32 v[8:9], v17
	v_cvt_f64_f32_e32 v[16:17], v18
	v_cvt_f64_f32_e32 v[18:19], v19
	s_wait_alu 0xfffe
	v_mul_f64_e32 v[0:1], s[2:3], v[0:1]
	v_mul_f64_e32 v[2:3], s[2:3], v[2:3]
	;; [unrolled: 1-line block ×10, first 2 shown]
	v_cvt_f32_f64_e32 v0, v[0:1]
	v_cvt_f32_f64_e32 v1, v[2:3]
	;; [unrolled: 1-line block ×8, first 2 shown]
	v_lshlrev_b64_e32 v[2:3], 3, v[20:21]
	v_cvt_f32_f64_e32 v6, v[16:17]
	v_cvt_f32_f64_e32 v7, v[18:19]
	v_lshlrev_b64_e32 v[8:9], 3, v[22:23]
	s_delay_alu instid0(VALU_DEP_4) | instskip(SKIP_3) | instid1(VALU_DEP_2)
	v_add_co_u32 v2, vcc_lo, s0, v2
	s_wait_alu 0xfffd
	v_add_co_ci_u32_e32 v3, vcc_lo, s1, v3, vcc_lo
	s_mul_u64 s[0:1], s[4:5], 0x7d0
	v_add_co_u32 v2, vcc_lo, v2, v8
	s_wait_alu 0xfffd
	s_delay_alu instid0(VALU_DEP_2) | instskip(SKIP_1) | instid1(VALU_DEP_2)
	v_add_co_ci_u32_e32 v3, vcc_lo, v3, v9, vcc_lo
	s_wait_alu 0xfffe
	v_add_co_u32 v8, vcc_lo, v2, s0
	s_wait_alu 0xfffd
	s_delay_alu instid0(VALU_DEP_2) | instskip(NEXT) | instid1(VALU_DEP_2)
	v_add_co_ci_u32_e32 v9, vcc_lo, s1, v3, vcc_lo
	v_add_co_u32 v14, vcc_lo, v8, s0
	s_wait_alu 0xfffd
	s_delay_alu instid0(VALU_DEP_2) | instskip(NEXT) | instid1(VALU_DEP_2)
	v_add_co_ci_u32_e32 v15, vcc_lo, s1, v9, vcc_lo
	;; [unrolled: 4-line block ×3, first 2 shown]
	v_add_co_u32 v18, vcc_lo, v16, s0
	s_wait_alu 0xfffd
	s_delay_alu instid0(VALU_DEP_2)
	v_add_co_ci_u32_e32 v19, vcc_lo, s1, v17, vcc_lo
	s_clause 0x4
	global_store_b64 v[2:3], v[0:1], off
	global_store_b64 v[8:9], v[10:11], off
	global_store_b64 v[14:15], v[12:13], off
	global_store_b64 v[16:17], v[4:5], off
	global_store_b64 v[18:19], v[6:7], off
.LBB0_10:
	s_nop 0
	s_sendmsg sendmsg(MSG_DEALLOC_VGPRS)
	s_endpgm
	.section	.rodata,"a",@progbits
	.p2align	6, 0x0
	.amdhsa_kernel bluestein_single_fwd_len1250_dim1_sp_op_CI_CI
		.amdhsa_group_segment_fixed_size 10000
		.amdhsa_private_segment_fixed_size 0
		.amdhsa_kernarg_size 104
		.amdhsa_user_sgpr_count 2
		.amdhsa_user_sgpr_dispatch_ptr 0
		.amdhsa_user_sgpr_queue_ptr 0
		.amdhsa_user_sgpr_kernarg_segment_ptr 1
		.amdhsa_user_sgpr_dispatch_id 0
		.amdhsa_user_sgpr_private_segment_size 0
		.amdhsa_wavefront_size32 1
		.amdhsa_uses_dynamic_stack 0
		.amdhsa_enable_private_segment 0
		.amdhsa_system_sgpr_workgroup_id_x 1
		.amdhsa_system_sgpr_workgroup_id_y 0
		.amdhsa_system_sgpr_workgroup_id_z 0
		.amdhsa_system_sgpr_workgroup_info 0
		.amdhsa_system_vgpr_workitem_id 0
		.amdhsa_next_free_vgpr 91
		.amdhsa_next_free_sgpr 20
		.amdhsa_reserve_vcc 1
		.amdhsa_float_round_mode_32 0
		.amdhsa_float_round_mode_16_64 0
		.amdhsa_float_denorm_mode_32 3
		.amdhsa_float_denorm_mode_16_64 3
		.amdhsa_fp16_overflow 0
		.amdhsa_workgroup_processor_mode 1
		.amdhsa_memory_ordered 1
		.amdhsa_forward_progress 0
		.amdhsa_round_robin_scheduling 0
		.amdhsa_exception_fp_ieee_invalid_op 0
		.amdhsa_exception_fp_denorm_src 0
		.amdhsa_exception_fp_ieee_div_zero 0
		.amdhsa_exception_fp_ieee_overflow 0
		.amdhsa_exception_fp_ieee_underflow 0
		.amdhsa_exception_fp_ieee_inexact 0
		.amdhsa_exception_int_div_zero 0
	.end_amdhsa_kernel
	.text
.Lfunc_end0:
	.size	bluestein_single_fwd_len1250_dim1_sp_op_CI_CI, .Lfunc_end0-bluestein_single_fwd_len1250_dim1_sp_op_CI_CI
                                        ; -- End function
	.section	.AMDGPU.csdata,"",@progbits
; Kernel info:
; codeLenInByte = 7640
; NumSgprs: 22
; NumVgprs: 91
; ScratchSize: 0
; MemoryBound: 0
; FloatMode: 240
; IeeeMode: 1
; LDSByteSize: 10000 bytes/workgroup (compile time only)
; SGPRBlocks: 2
; VGPRBlocks: 11
; NumSGPRsForWavesPerEU: 22
; NumVGPRsForWavesPerEU: 91
; Occupancy: 16
; WaveLimiterHint : 1
; COMPUTE_PGM_RSRC2:SCRATCH_EN: 0
; COMPUTE_PGM_RSRC2:USER_SGPR: 2
; COMPUTE_PGM_RSRC2:TRAP_HANDLER: 0
; COMPUTE_PGM_RSRC2:TGID_X_EN: 1
; COMPUTE_PGM_RSRC2:TGID_Y_EN: 0
; COMPUTE_PGM_RSRC2:TGID_Z_EN: 0
; COMPUTE_PGM_RSRC2:TIDIG_COMP_CNT: 0
	.text
	.p2alignl 7, 3214868480
	.fill 96, 4, 3214868480
	.type	__hip_cuid_776015052d593a40,@object ; @__hip_cuid_776015052d593a40
	.section	.bss,"aw",@nobits
	.globl	__hip_cuid_776015052d593a40
__hip_cuid_776015052d593a40:
	.byte	0                               ; 0x0
	.size	__hip_cuid_776015052d593a40, 1

	.ident	"AMD clang version 19.0.0git (https://github.com/RadeonOpenCompute/llvm-project roc-6.4.0 25133 c7fe45cf4b819c5991fe208aaa96edf142730f1d)"
	.section	".note.GNU-stack","",@progbits
	.addrsig
	.addrsig_sym __hip_cuid_776015052d593a40
	.amdgpu_metadata
---
amdhsa.kernels:
  - .args:
      - .actual_access:  read_only
        .address_space:  global
        .offset:         0
        .size:           8
        .value_kind:     global_buffer
      - .actual_access:  read_only
        .address_space:  global
        .offset:         8
        .size:           8
        .value_kind:     global_buffer
      - .actual_access:  read_only
        .address_space:  global
        .offset:         16
        .size:           8
        .value_kind:     global_buffer
      - .actual_access:  read_only
        .address_space:  global
        .offset:         24
        .size:           8
        .value_kind:     global_buffer
      - .actual_access:  read_only
        .address_space:  global
        .offset:         32
        .size:           8
        .value_kind:     global_buffer
      - .offset:         40
        .size:           8
        .value_kind:     by_value
      - .address_space:  global
        .offset:         48
        .size:           8
        .value_kind:     global_buffer
      - .address_space:  global
        .offset:         56
        .size:           8
        .value_kind:     global_buffer
      - .address_space:  global
        .offset:         64
        .size:           8
        .value_kind:     global_buffer
      - .address_space:  global
        .offset:         72
        .size:           8
        .value_kind:     global_buffer
      - .offset:         80
        .size:           4
        .value_kind:     by_value
      - .address_space:  global
        .offset:         88
        .size:           8
        .value_kind:     global_buffer
      - .address_space:  global
        .offset:         96
        .size:           8
        .value_kind:     global_buffer
    .group_segment_fixed_size: 10000
    .kernarg_segment_align: 8
    .kernarg_segment_size: 104
    .language:       OpenCL C
    .language_version:
      - 2
      - 0
    .max_flat_workgroup_size: 250
    .name:           bluestein_single_fwd_len1250_dim1_sp_op_CI_CI
    .private_segment_fixed_size: 0
    .sgpr_count:     22
    .sgpr_spill_count: 0
    .symbol:         bluestein_single_fwd_len1250_dim1_sp_op_CI_CI.kd
    .uniform_work_group_size: 1
    .uses_dynamic_stack: false
    .vgpr_count:     91
    .vgpr_spill_count: 0
    .wavefront_size: 32
    .workgroup_processor_mode: 1
amdhsa.target:   amdgcn-amd-amdhsa--gfx1201
amdhsa.version:
  - 1
  - 2
...

	.end_amdgpu_metadata
